;; amdgpu-corpus repo=zjin-lcf/HeCBench kind=compiled arch=gfx906 opt=O3
	.amdgcn_target "amdgcn-amd-amdhsa--gfx906"
	.amdhsa_code_object_version 6
	.text
	.protected	_Z10stencil_1dPKiPi     ; -- Begin function _Z10stencil_1dPKiPi
	.globl	_Z10stencil_1dPKiPi
	.p2align	8
	.type	_Z10stencil_1dPKiPi,@function
_Z10stencil_1dPKiPi:                    ; @_Z10stencil_1dPKiPi
; %bb.0:
	s_load_dword s0, s[4:5], 0x1c
	s_load_dwordx4 s[8:11], s[4:5], 0x0
	s_waitcnt lgkmcnt(0)
	s_and_b32 s0, s0, 0xffff
	s_mul_i32 s6, s6, s0
	v_add_u32_e32 v5, s6, v0
	v_ashrrev_i32_e32 v6, 31, v5
	v_lshlrev_b64 v[1:2], 2, v[5:6]
	v_mov_b32_e32 v4, s9
	v_add_co_u32_e32 v3, vcc, s8, v1
	v_addc_co_u32_e64 v4, s[0:1], v4, v2, vcc
	global_load_dword v7, v[3:4], off
	v_lshlrev_b32_e32 v6, 2, v0
	v_cmp_gt_u32_e64 s[0:1], 7, v0
	s_waitcnt vmcnt(0)
	ds_write_b32 v6, v7 offset:28
	s_and_saveexec_b64 s[2:3], s[0:1]
	s_cbranch_execz .LBB0_4
; %bb.1:
	v_cmp_lt_i32_e64 s[0:1], 6, v5
	v_mov_b32_e32 v0, 0
	s_and_saveexec_b64 s[4:5], s[0:1]
	s_cbranch_execz .LBB0_3
; %bb.2:
	v_mov_b32_e32 v0, s9
	v_addc_co_u32_e32 v8, vcc, v0, v2, vcc
	v_mov_b32_e32 v7, v3
	global_load_dword v0, v[7:8], off offset:-28
.LBB0_3:
	s_or_b64 exec, exec, s[4:5]
	global_load_dword v3, v[3:4], off offset:1024
	s_waitcnt vmcnt(1)
	ds_write_b32 v6, v0
	s_waitcnt vmcnt(0)
	ds_write_b32 v6, v3 offset:1052
.LBB0_4:
	s_or_b64 exec, exec, s[2:3]
	s_waitcnt lgkmcnt(0)
	s_barrier
	ds_read2_b32 v[3:4], v6 offset1:1
	ds_read2_b32 v[7:8], v6 offset0:2 offset1:3
	ds_read2_b32 v[9:10], v6 offset0:4 offset1:5
	;; [unrolled: 1-line block ×3, first 2 shown]
	s_waitcnt lgkmcnt(2)
	v_add3_u32 v0, v4, v3, v7
	s_waitcnt lgkmcnt(1)
	v_add3_u32 v0, v8, v0, v9
	ds_read2_b32 v[3:4], v6 offset0:8 offset1:9
	ds_read2_b32 v[7:8], v6 offset0:10 offset1:11
	ds_read2_b32 v[13:14], v6 offset0:12 offset1:13
	ds_read_b32 v5, v6 offset:56
	s_waitcnt lgkmcnt(4)
	v_add3_u32 v0, v10, v0, v11
	s_waitcnt lgkmcnt(3)
	v_add3_u32 v0, v12, v0, v3
	;; [unrolled: 2-line block ×5, first 2 shown]
	v_mov_b32_e32 v4, s11
	v_add_co_u32_e32 v0, vcc, s10, v1
	v_addc_co_u32_e32 v1, vcc, v4, v2, vcc
	global_store_dword v[0:1], v3, off
	s_endpgm
	.section	.rodata,"a",@progbits
	.p2align	6, 0x0
	.amdhsa_kernel _Z10stencil_1dPKiPi
		.amdhsa_group_segment_fixed_size 1080
		.amdhsa_private_segment_fixed_size 0
		.amdhsa_kernarg_size 272
		.amdhsa_user_sgpr_count 6
		.amdhsa_user_sgpr_private_segment_buffer 1
		.amdhsa_user_sgpr_dispatch_ptr 0
		.amdhsa_user_sgpr_queue_ptr 0
		.amdhsa_user_sgpr_kernarg_segment_ptr 1
		.amdhsa_user_sgpr_dispatch_id 0
		.amdhsa_user_sgpr_flat_scratch_init 0
		.amdhsa_user_sgpr_private_segment_size 0
		.amdhsa_uses_dynamic_stack 0
		.amdhsa_system_sgpr_private_segment_wavefront_offset 0
		.amdhsa_system_sgpr_workgroup_id_x 1
		.amdhsa_system_sgpr_workgroup_id_y 0
		.amdhsa_system_sgpr_workgroup_id_z 0
		.amdhsa_system_sgpr_workgroup_info 0
		.amdhsa_system_vgpr_workitem_id 0
		.amdhsa_next_free_vgpr 15
		.amdhsa_next_free_sgpr 12
		.amdhsa_reserve_vcc 1
		.amdhsa_reserve_flat_scratch 0
		.amdhsa_float_round_mode_32 0
		.amdhsa_float_round_mode_16_64 0
		.amdhsa_float_denorm_mode_32 3
		.amdhsa_float_denorm_mode_16_64 3
		.amdhsa_dx10_clamp 1
		.amdhsa_ieee_mode 1
		.amdhsa_fp16_overflow 0
		.amdhsa_exception_fp_ieee_invalid_op 0
		.amdhsa_exception_fp_denorm_src 0
		.amdhsa_exception_fp_ieee_div_zero 0
		.amdhsa_exception_fp_ieee_overflow 0
		.amdhsa_exception_fp_ieee_underflow 0
		.amdhsa_exception_fp_ieee_inexact 0
		.amdhsa_exception_int_div_zero 0
	.end_amdhsa_kernel
	.text
.Lfunc_end0:
	.size	_Z10stencil_1dPKiPi, .Lfunc_end0-_Z10stencil_1dPKiPi
                                        ; -- End function
	.set _Z10stencil_1dPKiPi.num_vgpr, 15
	.set _Z10stencil_1dPKiPi.num_agpr, 0
	.set _Z10stencil_1dPKiPi.numbered_sgpr, 12
	.set _Z10stencil_1dPKiPi.num_named_barrier, 0
	.set _Z10stencil_1dPKiPi.private_seg_size, 0
	.set _Z10stencil_1dPKiPi.uses_vcc, 1
	.set _Z10stencil_1dPKiPi.uses_flat_scratch, 0
	.set _Z10stencil_1dPKiPi.has_dyn_sized_stack, 0
	.set _Z10stencil_1dPKiPi.has_recursion, 0
	.set _Z10stencil_1dPKiPi.has_indirect_call, 0
	.section	.AMDGPU.csdata,"",@progbits
; Kernel info:
; codeLenInByte = 364
; TotalNumSgprs: 16
; NumVgprs: 15
; ScratchSize: 0
; MemoryBound: 0
; FloatMode: 240
; IeeeMode: 1
; LDSByteSize: 1080 bytes/workgroup (compile time only)
; SGPRBlocks: 1
; VGPRBlocks: 3
; NumSGPRsForWavesPerEU: 16
; NumVGPRsForWavesPerEU: 15
; Occupancy: 10
; WaveLimiterHint : 0
; COMPUTE_PGM_RSRC2:SCRATCH_EN: 0
; COMPUTE_PGM_RSRC2:USER_SGPR: 6
; COMPUTE_PGM_RSRC2:TRAP_HANDLER: 0
; COMPUTE_PGM_RSRC2:TGID_X_EN: 1
; COMPUTE_PGM_RSRC2:TGID_Y_EN: 0
; COMPUTE_PGM_RSRC2:TGID_Z_EN: 0
; COMPUTE_PGM_RSRC2:TIDIG_COMP_CNT: 0
	.section	.AMDGPU.gpr_maximums,"",@progbits
	.set amdgpu.max_num_vgpr, 0
	.set amdgpu.max_num_agpr, 0
	.set amdgpu.max_num_sgpr, 0
	.section	.AMDGPU.csdata,"",@progbits
	.type	__hip_cuid_33e74ef7c21e7be8,@object ; @__hip_cuid_33e74ef7c21e7be8
	.section	.bss,"aw",@nobits
	.globl	__hip_cuid_33e74ef7c21e7be8
__hip_cuid_33e74ef7c21e7be8:
	.byte	0                               ; 0x0
	.size	__hip_cuid_33e74ef7c21e7be8, 1

	.ident	"AMD clang version 22.0.0git (https://github.com/RadeonOpenCompute/llvm-project roc-7.2.4 26084 f58b06dce1f9c15707c5f808fd002e18c2accf7e)"
	.section	".note.GNU-stack","",@progbits
	.addrsig
	.addrsig_sym __hip_cuid_33e74ef7c21e7be8
	.amdgpu_metadata
---
amdhsa.kernels:
  - .args:
      - .actual_access:  read_only
        .address_space:  global
        .offset:         0
        .size:           8
        .value_kind:     global_buffer
      - .actual_access:  write_only
        .address_space:  global
        .offset:         8
        .size:           8
        .value_kind:     global_buffer
      - .offset:         16
        .size:           4
        .value_kind:     hidden_block_count_x
      - .offset:         20
        .size:           4
        .value_kind:     hidden_block_count_y
      - .offset:         24
        .size:           4
        .value_kind:     hidden_block_count_z
      - .offset:         28
        .size:           2
        .value_kind:     hidden_group_size_x
      - .offset:         30
        .size:           2
        .value_kind:     hidden_group_size_y
      - .offset:         32
        .size:           2
        .value_kind:     hidden_group_size_z
      - .offset:         34
        .size:           2
        .value_kind:     hidden_remainder_x
      - .offset:         36
        .size:           2
        .value_kind:     hidden_remainder_y
      - .offset:         38
        .size:           2
        .value_kind:     hidden_remainder_z
      - .offset:         56
        .size:           8
        .value_kind:     hidden_global_offset_x
      - .offset:         64
        .size:           8
        .value_kind:     hidden_global_offset_y
      - .offset:         72
        .size:           8
        .value_kind:     hidden_global_offset_z
      - .offset:         80
        .size:           2
        .value_kind:     hidden_grid_dims
    .group_segment_fixed_size: 1080
    .kernarg_segment_align: 8
    .kernarg_segment_size: 272
    .language:       OpenCL C
    .language_version:
      - 2
      - 0
    .max_flat_workgroup_size: 1024
    .name:           _Z10stencil_1dPKiPi
    .private_segment_fixed_size: 0
    .sgpr_count:     16
    .sgpr_spill_count: 0
    .symbol:         _Z10stencil_1dPKiPi.kd
    .uniform_work_group_size: 1
    .uses_dynamic_stack: false
    .vgpr_count:     15
    .vgpr_spill_count: 0
    .wavefront_size: 64
amdhsa.target:   amdgcn-amd-amdhsa--gfx906
amdhsa.version:
  - 1
  - 2
...

	.end_amdgpu_metadata
